;; amdgpu-corpus repo=ROCm/rocFFT kind=compiled arch=gfx906 opt=O3
	.text
	.amdgcn_target "amdgcn-amd-amdhsa--gfx906"
	.amdhsa_code_object_version 6
	.protected	fft_rtc_fwd_len500_factors_10_5_10_wgs_100_tpt_100_halfLds_dp_ip_CI_unitstride_sbrr_C2R_dirReg ; -- Begin function fft_rtc_fwd_len500_factors_10_5_10_wgs_100_tpt_100_halfLds_dp_ip_CI_unitstride_sbrr_C2R_dirReg
	.globl	fft_rtc_fwd_len500_factors_10_5_10_wgs_100_tpt_100_halfLds_dp_ip_CI_unitstride_sbrr_C2R_dirReg
	.p2align	8
	.type	fft_rtc_fwd_len500_factors_10_5_10_wgs_100_tpt_100_halfLds_dp_ip_CI_unitstride_sbrr_C2R_dirReg,@function
fft_rtc_fwd_len500_factors_10_5_10_wgs_100_tpt_100_halfLds_dp_ip_CI_unitstride_sbrr_C2R_dirReg: ; @fft_rtc_fwd_len500_factors_10_5_10_wgs_100_tpt_100_halfLds_dp_ip_CI_unitstride_sbrr_C2R_dirReg
; %bb.0:
	s_load_dwordx2 s[2:3], s[4:5], 0x50
	s_load_dwordx4 s[8:11], s[4:5], 0x0
	s_load_dwordx2 s[12:13], s[4:5], 0x18
	v_mul_u32_u24_e32 v1, 0x290, v0
	v_add_u32_sdwa v5, s6, v1 dst_sel:DWORD dst_unused:UNUSED_PAD src0_sel:DWORD src1_sel:WORD_1
	v_mov_b32_e32 v3, 0
	s_waitcnt lgkmcnt(0)
	v_cmp_lt_u64_e64 s[0:1], s[10:11], 2
	v_mov_b32_e32 v1, 0
	v_mov_b32_e32 v6, v3
	s_and_b64 vcc, exec, s[0:1]
	v_mov_b32_e32 v2, 0
	s_cbranch_vccnz .LBB0_8
; %bb.1:
	s_load_dwordx2 s[0:1], s[4:5], 0x10
	s_add_u32 s6, s12, 8
	s_addc_u32 s7, s13, 0
	v_mov_b32_e32 v1, 0
	v_mov_b32_e32 v2, 0
	s_waitcnt lgkmcnt(0)
	s_add_u32 s14, s0, 8
	s_addc_u32 s15, s1, 0
	s_mov_b64 s[16:17], 1
.LBB0_2:                                ; =>This Inner Loop Header: Depth=1
	s_load_dwordx2 s[18:19], s[14:15], 0x0
                                        ; implicit-def: $vgpr7_vgpr8
	s_waitcnt lgkmcnt(0)
	v_or_b32_e32 v4, s19, v6
	v_cmp_ne_u64_e32 vcc, 0, v[3:4]
	s_and_saveexec_b64 s[0:1], vcc
	s_xor_b64 s[20:21], exec, s[0:1]
	s_cbranch_execz .LBB0_4
; %bb.3:                                ;   in Loop: Header=BB0_2 Depth=1
	v_cvt_f32_u32_e32 v4, s18
	v_cvt_f32_u32_e32 v7, s19
	s_sub_u32 s0, 0, s18
	s_subb_u32 s1, 0, s19
	v_mac_f32_e32 v4, 0x4f800000, v7
	v_rcp_f32_e32 v4, v4
	v_mul_f32_e32 v4, 0x5f7ffffc, v4
	v_mul_f32_e32 v7, 0x2f800000, v4
	v_trunc_f32_e32 v7, v7
	v_mac_f32_e32 v4, 0xcf800000, v7
	v_cvt_u32_f32_e32 v7, v7
	v_cvt_u32_f32_e32 v4, v4
	v_mul_lo_u32 v8, s0, v7
	v_mul_hi_u32 v9, s0, v4
	v_mul_lo_u32 v11, s1, v4
	v_mul_lo_u32 v10, s0, v4
	v_add_u32_e32 v8, v9, v8
	v_add_u32_e32 v8, v8, v11
	v_mul_hi_u32 v9, v4, v10
	v_mul_lo_u32 v11, v4, v8
	v_mul_hi_u32 v13, v4, v8
	v_mul_hi_u32 v12, v7, v10
	v_mul_lo_u32 v10, v7, v10
	v_mul_hi_u32 v14, v7, v8
	v_add_co_u32_e32 v9, vcc, v9, v11
	v_addc_co_u32_e32 v11, vcc, 0, v13, vcc
	v_mul_lo_u32 v8, v7, v8
	v_add_co_u32_e32 v9, vcc, v9, v10
	v_addc_co_u32_e32 v9, vcc, v11, v12, vcc
	v_addc_co_u32_e32 v10, vcc, 0, v14, vcc
	v_add_co_u32_e32 v8, vcc, v9, v8
	v_addc_co_u32_e32 v9, vcc, 0, v10, vcc
	v_add_co_u32_e32 v4, vcc, v4, v8
	v_addc_co_u32_e32 v7, vcc, v7, v9, vcc
	v_mul_lo_u32 v8, s0, v7
	v_mul_hi_u32 v9, s0, v4
	v_mul_lo_u32 v10, s1, v4
	v_mul_lo_u32 v11, s0, v4
	v_add_u32_e32 v8, v9, v8
	v_add_u32_e32 v8, v8, v10
	v_mul_lo_u32 v12, v4, v8
	v_mul_hi_u32 v13, v4, v11
	v_mul_hi_u32 v14, v4, v8
	;; [unrolled: 1-line block ×3, first 2 shown]
	v_mul_lo_u32 v11, v7, v11
	v_mul_hi_u32 v9, v7, v8
	v_add_co_u32_e32 v12, vcc, v13, v12
	v_addc_co_u32_e32 v13, vcc, 0, v14, vcc
	v_mul_lo_u32 v8, v7, v8
	v_add_co_u32_e32 v11, vcc, v12, v11
	v_addc_co_u32_e32 v10, vcc, v13, v10, vcc
	v_addc_co_u32_e32 v9, vcc, 0, v9, vcc
	v_add_co_u32_e32 v8, vcc, v10, v8
	v_addc_co_u32_e32 v9, vcc, 0, v9, vcc
	v_add_co_u32_e32 v4, vcc, v4, v8
	v_addc_co_u32_e32 v9, vcc, v7, v9, vcc
	v_mad_u64_u32 v[7:8], s[0:1], v5, v9, 0
	v_mul_hi_u32 v10, v5, v4
	v_add_co_u32_e32 v11, vcc, v10, v7
	v_addc_co_u32_e32 v12, vcc, 0, v8, vcc
	v_mad_u64_u32 v[7:8], s[0:1], v6, v4, 0
	v_mad_u64_u32 v[9:10], s[0:1], v6, v9, 0
	v_add_co_u32_e32 v4, vcc, v11, v7
	v_addc_co_u32_e32 v4, vcc, v12, v8, vcc
	v_addc_co_u32_e32 v7, vcc, 0, v10, vcc
	v_add_co_u32_e32 v4, vcc, v4, v9
	v_addc_co_u32_e32 v9, vcc, 0, v7, vcc
	v_mul_lo_u32 v10, s19, v4
	v_mul_lo_u32 v11, s18, v9
	v_mad_u64_u32 v[7:8], s[0:1], s18, v4, 0
	v_add3_u32 v8, v8, v11, v10
	v_sub_u32_e32 v10, v6, v8
	v_mov_b32_e32 v11, s19
	v_sub_co_u32_e32 v7, vcc, v5, v7
	v_subb_co_u32_e64 v10, s[0:1], v10, v11, vcc
	v_subrev_co_u32_e64 v11, s[0:1], s18, v7
	v_subbrev_co_u32_e64 v10, s[0:1], 0, v10, s[0:1]
	v_cmp_le_u32_e64 s[0:1], s19, v10
	v_cndmask_b32_e64 v12, 0, -1, s[0:1]
	v_cmp_le_u32_e64 s[0:1], s18, v11
	v_cndmask_b32_e64 v11, 0, -1, s[0:1]
	v_cmp_eq_u32_e64 s[0:1], s19, v10
	v_cndmask_b32_e64 v10, v12, v11, s[0:1]
	v_add_co_u32_e64 v11, s[0:1], 2, v4
	v_addc_co_u32_e64 v12, s[0:1], 0, v9, s[0:1]
	v_add_co_u32_e64 v13, s[0:1], 1, v4
	v_addc_co_u32_e64 v14, s[0:1], 0, v9, s[0:1]
	v_subb_co_u32_e32 v8, vcc, v6, v8, vcc
	v_cmp_ne_u32_e64 s[0:1], 0, v10
	v_cmp_le_u32_e32 vcc, s19, v8
	v_cndmask_b32_e64 v10, v14, v12, s[0:1]
	v_cndmask_b32_e64 v12, 0, -1, vcc
	v_cmp_le_u32_e32 vcc, s18, v7
	v_cndmask_b32_e64 v7, 0, -1, vcc
	v_cmp_eq_u32_e32 vcc, s19, v8
	v_cndmask_b32_e32 v7, v12, v7, vcc
	v_cmp_ne_u32_e32 vcc, 0, v7
	v_cndmask_b32_e64 v7, v13, v11, s[0:1]
	v_cndmask_b32_e32 v8, v9, v10, vcc
	v_cndmask_b32_e32 v7, v4, v7, vcc
.LBB0_4:                                ;   in Loop: Header=BB0_2 Depth=1
	s_andn2_saveexec_b64 s[0:1], s[20:21]
	s_cbranch_execz .LBB0_6
; %bb.5:                                ;   in Loop: Header=BB0_2 Depth=1
	v_cvt_f32_u32_e32 v4, s18
	s_sub_i32 s20, 0, s18
	v_rcp_iflag_f32_e32 v4, v4
	v_mul_f32_e32 v4, 0x4f7ffffe, v4
	v_cvt_u32_f32_e32 v4, v4
	v_mul_lo_u32 v7, s20, v4
	v_mul_hi_u32 v7, v4, v7
	v_add_u32_e32 v4, v4, v7
	v_mul_hi_u32 v4, v5, v4
	v_mul_lo_u32 v7, v4, s18
	v_add_u32_e32 v8, 1, v4
	v_sub_u32_e32 v7, v5, v7
	v_subrev_u32_e32 v9, s18, v7
	v_cmp_le_u32_e32 vcc, s18, v7
	v_cndmask_b32_e32 v7, v7, v9, vcc
	v_cndmask_b32_e32 v4, v4, v8, vcc
	v_add_u32_e32 v8, 1, v4
	v_cmp_le_u32_e32 vcc, s18, v7
	v_cndmask_b32_e32 v7, v4, v8, vcc
	v_mov_b32_e32 v8, v3
.LBB0_6:                                ;   in Loop: Header=BB0_2 Depth=1
	s_or_b64 exec, exec, s[0:1]
	v_mul_lo_u32 v4, v8, s18
	v_mul_lo_u32 v11, v7, s19
	v_mad_u64_u32 v[9:10], s[0:1], v7, s18, 0
	s_load_dwordx2 s[0:1], s[6:7], 0x0
	s_add_u32 s16, s16, 1
	v_add3_u32 v4, v10, v11, v4
	v_sub_co_u32_e32 v5, vcc, v5, v9
	v_subb_co_u32_e32 v4, vcc, v6, v4, vcc
	s_waitcnt lgkmcnt(0)
	v_mul_lo_u32 v4, s0, v4
	v_mul_lo_u32 v6, s1, v5
	v_mad_u64_u32 v[1:2], s[0:1], s0, v5, v[1:2]
	s_addc_u32 s17, s17, 0
	s_add_u32 s6, s6, 8
	v_add3_u32 v2, v6, v2, v4
	v_mov_b32_e32 v4, s10
	v_mov_b32_e32 v5, s11
	s_addc_u32 s7, s7, 0
	v_cmp_ge_u64_e32 vcc, s[16:17], v[4:5]
	s_add_u32 s14, s14, 8
	s_addc_u32 s15, s15, 0
	s_cbranch_vccnz .LBB0_9
; %bb.7:                                ;   in Loop: Header=BB0_2 Depth=1
	v_mov_b32_e32 v5, v7
	v_mov_b32_e32 v6, v8
	s_branch .LBB0_2
.LBB0_8:
	v_mov_b32_e32 v8, v6
	v_mov_b32_e32 v7, v5
.LBB0_9:
	s_lshl_b64 s[0:1], s[10:11], 3
	s_add_u32 s0, s12, s0
	s_addc_u32 s1, s13, s1
	s_load_dwordx2 s[6:7], s[0:1], 0x0
	s_load_dwordx2 s[10:11], s[4:5], 0x20
	s_waitcnt lgkmcnt(0)
	v_mad_u64_u32 v[1:2], s[0:1], s6, v7, v[1:2]
	v_mul_lo_u32 v3, s6, v8
	v_mul_lo_u32 v4, s7, v7
	s_mov_b32 s0, 0x28f5c29
	v_mul_hi_u32 v5, v0, s0
	v_cmp_gt_u64_e64 s[0:1], s[10:11], v[7:8]
	v_add3_u32 v2, v4, v2, v3
	v_lshlrev_b64 v[42:43], 4, v[1:2]
	v_mul_u32_u24_e32 v3, 0x64, v5
	v_sub_u32_e32 v40, v0, v3
	s_and_saveexec_b64 s[4:5], s[0:1]
	s_cbranch_execz .LBB0_13
; %bb.10:
	v_mov_b32_e32 v41, 0
	v_mov_b32_e32 v0, s3
	v_add_co_u32_e32 v1, vcc, s2, v42
	v_lshlrev_b64 v[2:3], 4, v[40:41]
	v_addc_co_u32_e32 v0, vcc, v0, v43, vcc
	v_add_co_u32_e32 v22, vcc, v1, v2
	v_addc_co_u32_e32 v23, vcc, v0, v3, vcc
	v_add_co_u32_e32 v24, vcc, 0x1000, v22
	global_load_dwordx4 v[2:5], v[22:23], off
	global_load_dwordx4 v[6:9], v[22:23], off offset:1600
	v_addc_co_u32_e32 v25, vcc, 0, v23, vcc
	global_load_dwordx4 v[10:13], v[22:23], off offset:3200
	global_load_dwordx4 v[14:17], v[24:25], off offset:704
	;; [unrolled: 1-line block ×3, first 2 shown]
	s_movk_i32 s6, 0x63
	v_lshl_add_u32 v22, v40, 4, 0
	v_cmp_eq_u32_e32 vcc, s6, v40
	s_waitcnt vmcnt(4)
	ds_write_b128 v22, v[2:5]
	s_waitcnt vmcnt(3)
	ds_write_b128 v22, v[6:9] offset:1600
	s_waitcnt vmcnt(2)
	ds_write_b128 v22, v[10:13] offset:3200
	;; [unrolled: 2-line block ×4, first 2 shown]
	s_and_saveexec_b64 s[6:7], vcc
	s_cbranch_execz .LBB0_12
; %bb.11:
	v_add_co_u32_e32 v1, vcc, 0x1000, v1
	v_addc_co_u32_e32 v2, vcc, 0, v0, vcc
	global_load_dwordx4 v[0:3], v[1:2], off offset:3904
	v_mov_b32_e32 v40, 0x63
	s_waitcnt vmcnt(0)
	ds_write_b128 v41, v[0:3] offset:8000
.LBB0_12:
	s_or_b64 exec, exec, s[6:7]
.LBB0_13:
	s_or_b64 exec, exec, s[4:5]
	v_lshlrev_b32_e32 v0, 4, v40
	v_add_u32_e32 v64, 0, v0
	s_waitcnt lgkmcnt(0)
	s_barrier
	v_sub_u32_e32 v10, 0, v0
	ds_read_b64 v[6:7], v64
	ds_read_b64 v[8:9], v10 offset:8000
	s_add_u32 s6, s8, 0x1ea0
	s_addc_u32 s7, s9, 0
	v_cmp_ne_u32_e32 vcc, 0, v40
                                        ; implicit-def: $vgpr4_vgpr5
	s_waitcnt lgkmcnt(0)
	v_add_f64 v[0:1], v[6:7], v[8:9]
	v_add_f64 v[2:3], v[6:7], -v[8:9]
	s_and_saveexec_b64 s[4:5], vcc
	s_xor_b64 s[4:5], exec, s[4:5]
	s_cbranch_execz .LBB0_15
; %bb.14:
	v_mov_b32_e32 v41, 0
	v_lshlrev_b64 v[0:1], 4, v[40:41]
	v_mov_b32_e32 v2, s7
	v_add_co_u32_e32 v0, vcc, s6, v0
	v_addc_co_u32_e32 v1, vcc, v2, v1, vcc
	global_load_dwordx4 v[2:5], v[0:1], off
	ds_read_b64 v[0:1], v10 offset:8008
	ds_read_b64 v[11:12], v64 offset:8
	v_add_f64 v[13:14], v[6:7], v[8:9]
	v_add_f64 v[8:9], v[6:7], -v[8:9]
	s_waitcnt lgkmcnt(0)
	v_add_f64 v[15:16], v[0:1], v[11:12]
	v_add_f64 v[0:1], v[11:12], -v[0:1]
	s_waitcnt vmcnt(0)
	v_fma_f64 v[6:7], -v[8:9], v[4:5], v[13:14]
	v_fma_f64 v[11:12], v[15:16], v[4:5], -v[0:1]
	v_fma_f64 v[13:14], v[8:9], v[4:5], v[13:14]
	v_fma_f64 v[17:18], v[15:16], v[4:5], v[0:1]
	;; [unrolled: 1-line block ×4, first 2 shown]
	v_fma_f64 v[0:1], -v[15:16], v[2:3], v[13:14]
	v_fma_f64 v[2:3], v[8:9], v[2:3], v[17:18]
	ds_write_b128 v10, v[4:7] offset:8000
	v_mov_b32_e32 v4, v40
	v_mov_b32_e32 v5, v41
.LBB0_15:
	s_andn2_saveexec_b64 s[4:5], s[4:5]
	s_cbranch_execz .LBB0_17
; %bb.16:
	v_mov_b32_e32 v8, 0
	ds_read_b128 v[4:7], v8 offset:4000
	s_waitcnt lgkmcnt(0)
	v_add_f64 v[11:12], v[4:5], v[4:5]
	v_mul_f64 v[13:14], v[6:7], -2.0
	v_mov_b32_e32 v4, 0
	v_mov_b32_e32 v5, 0
	ds_write_b128 v8, v[11:14] offset:4000
.LBB0_17:
	s_or_b64 exec, exec, s[4:5]
	v_lshlrev_b64 v[4:5], 4, v[4:5]
	v_mov_b32_e32 v6, s7
	v_add_co_u32_e32 v4, vcc, s6, v4
	v_addc_co_u32_e32 v5, vcc, v6, v5, vcc
	global_load_dwordx4 v[6:9], v[4:5], off offset:1600
	ds_write_b128 v64, v[0:3]
	ds_read_b128 v[0:3], v64 offset:1600
	ds_read_b128 v[11:14], v10 offset:6400
	v_cmp_gt_u32_e32 vcc, 50, v40
	s_waitcnt lgkmcnt(0)
	v_add_f64 v[15:16], v[0:1], v[11:12]
	v_add_f64 v[17:18], v[13:14], v[2:3]
	v_add_f64 v[19:20], v[0:1], -v[11:12]
	v_add_f64 v[0:1], v[2:3], -v[13:14]
	s_waitcnt vmcnt(0)
	v_fma_f64 v[2:3], v[19:20], v[8:9], v[15:16]
	v_fma_f64 v[11:12], v[17:18], v[8:9], v[0:1]
	v_fma_f64 v[13:14], -v[19:20], v[8:9], v[15:16]
	v_fma_f64 v[8:9], v[17:18], v[8:9], -v[0:1]
	v_fma_f64 v[0:1], -v[17:18], v[6:7], v[2:3]
	v_fma_f64 v[2:3], v[19:20], v[6:7], v[11:12]
	v_fma_f64 v[11:12], v[17:18], v[6:7], v[13:14]
	v_fma_f64 v[13:14], v[19:20], v[6:7], v[8:9]
	ds_write_b128 v64, v[0:3] offset:1600
	ds_write_b128 v10, v[11:14] offset:6400
	s_and_saveexec_b64 s[4:5], vcc
	s_cbranch_execz .LBB0_19
; %bb.18:
	global_load_dwordx4 v[0:3], v[4:5], off offset:3200
	ds_read_b128 v[4:7], v64 offset:3200
	ds_read_b128 v[11:14], v10 offset:4800
	s_waitcnt lgkmcnt(0)
	v_add_f64 v[8:9], v[4:5], v[11:12]
	v_add_f64 v[15:16], v[13:14], v[6:7]
	v_add_f64 v[11:12], v[4:5], -v[11:12]
	v_add_f64 v[4:5], v[6:7], -v[13:14]
	s_waitcnt vmcnt(0)
	v_fma_f64 v[6:7], v[11:12], v[2:3], v[8:9]
	v_fma_f64 v[13:14], v[15:16], v[2:3], v[4:5]
	v_fma_f64 v[8:9], -v[11:12], v[2:3], v[8:9]
	v_fma_f64 v[17:18], v[15:16], v[2:3], -v[4:5]
	v_fma_f64 v[2:3], -v[15:16], v[0:1], v[6:7]
	v_fma_f64 v[4:5], v[11:12], v[0:1], v[13:14]
	v_fma_f64 v[6:7], v[15:16], v[0:1], v[8:9]
	;; [unrolled: 1-line block ×3, first 2 shown]
	ds_write_b128 v64, v[2:5] offset:3200
	ds_write_b128 v10, v[6:9] offset:4800
.LBB0_19:
	s_or_b64 exec, exec, s[4:5]
	s_waitcnt lgkmcnt(0)
	s_barrier
	s_barrier
	ds_read_b128 v[0:3], v64 offset:4800
	ds_read_b128 v[4:7], v64 offset:3200
	;; [unrolled: 1-line block ×5, first 2 shown]
	ds_read_b128 v[24:27], v64
	ds_read_b128 v[44:47], v64 offset:800
	ds_read_b128 v[30:33], v64 offset:6400
	;; [unrolled: 1-line block ×3, first 2 shown]
	s_waitcnt lgkmcnt(7)
	v_add_f64 v[20:21], v[4:5], v[0:1]
	s_waitcnt lgkmcnt(3)
	v_add_f64 v[22:23], v[24:25], v[8:9]
	s_mov_b32 s6, 0x134454ff
	s_waitcnt lgkmcnt(1)
	v_add_f64 v[34:35], v[10:11], -v[32:33]
	s_mov_b32 s7, 0x3fee6f0e
	v_add_f64 v[36:37], v[8:9], -v[4:5]
	v_add_f64 v[38:39], v[30:31], -v[0:1]
	;; [unrolled: 1-line block ×3, first 2 shown]
	v_fma_f64 v[28:29], v[20:21], -0.5, v[24:25]
	v_add_f64 v[20:21], v[22:23], v[4:5]
	s_mov_b32 s4, 0x4755a5e
	s_mov_b32 s5, 0x3fe2cf23
	v_add_f64 v[58:59], v[8:9], v[30:31]
	s_mov_b32 s10, 0x372fe950
	v_add_f64 v[36:37], v[36:37], v[38:39]
	s_mov_b32 s11, 0x3fd3c6ef
	v_fma_f64 v[22:23], v[34:35], s[6:7], v[28:29]
	v_add_f64 v[20:21], v[20:21], v[0:1]
	s_mov_b32 s13, 0xbfee6f0e
	s_mov_b32 s12, s6
	v_fma_f64 v[24:25], v[58:59], -0.5, v[24:25]
	v_fma_f64 v[28:29], v[34:35], s[12:13], v[28:29]
	v_add_f64 v[62:63], v[4:5], -v[8:9]
	v_add_f64 v[65:66], v[0:1], -v[30:31]
	v_fma_f64 v[38:39], v[56:57], s[4:5], v[22:23]
	v_add_f64 v[22:23], v[20:21], v[30:31]
	s_mov_b32 s15, 0xbfe2cf23
	s_mov_b32 s14, s4
	v_fma_f64 v[60:61], v[56:57], s[12:13], v[24:25]
	v_add_f64 v[58:59], v[6:7], v[2:3]
	v_fma_f64 v[24:25], v[56:57], s[6:7], v[24:25]
	v_add_f64 v[8:9], v[8:9], -v[30:31]
	v_fma_f64 v[20:21], v[36:37], s[10:11], v[38:39]
	v_add_f64 v[38:39], v[26:27], v[10:11]
	v_fma_f64 v[28:29], v[56:57], s[14:15], v[28:29]
	v_add_f64 v[56:57], v[62:63], v[65:66]
	;; [unrolled: 2-line block ×3, first 2 shown]
	v_fma_f64 v[58:59], v[58:59], -0.5, v[26:27]
	v_fma_f64 v[34:35], v[34:35], s[14:15], v[24:25]
	v_add_f64 v[0:1], v[4:5], -v[0:1]
	v_add_f64 v[38:39], v[38:39], v[6:7]
	v_fma_f64 v[24:25], v[36:37], s[10:11], v[28:29]
	v_add_f64 v[4:5], v[10:11], -v[6:7]
	v_add_f64 v[36:37], v[32:33], -v[2:3]
	v_fma_f64 v[28:29], v[56:57], s[10:11], v[30:31]
	v_fma_f64 v[60:61], v[60:61], -0.5, v[26:27]
	v_fma_f64 v[62:63], v[8:9], s[12:13], v[58:59]
	v_fma_f64 v[26:27], v[56:57], s[10:11], v[34:35]
	v_add_f64 v[38:39], v[38:39], v[2:3]
	v_add_f64 v[56:57], v[12:13], v[16:17]
	v_add_f64 v[6:7], v[6:7], -v[10:11]
	v_add_f64 v[4:5], v[4:5], v[36:37]
	v_fma_f64 v[36:37], v[8:9], s[6:7], v[58:59]
	v_fma_f64 v[58:59], v[0:1], s[6:7], v[60:61]
	v_add_f64 v[2:3], v[2:3], -v[32:33]
	v_fma_f64 v[10:11], v[0:1], s[12:13], v[60:61]
	v_add_f64 v[30:31], v[38:39], v[32:33]
	s_waitcnt lgkmcnt(0)
	v_add_f64 v[38:39], v[44:45], v[48:49]
	ds_read_b128 v[52:55], v64 offset:7200
	v_fma_f64 v[34:35], v[0:1], s[14:15], v[62:63]
	v_fma_f64 v[56:57], v[56:57], -0.5, v[44:45]
	v_fma_f64 v[0:1], v[0:1], s[4:5], v[36:37]
	v_fma_f64 v[36:37], v[8:9], s[14:15], v[58:59]
	s_waitcnt lgkmcnt(0)
	v_add_f64 v[60:61], v[50:51], -v[54:55]
	v_add_f64 v[2:3], v[6:7], v[2:3]
	v_add_f64 v[38:39], v[38:39], v[12:13]
	v_fma_f64 v[6:7], v[8:9], s[4:5], v[10:11]
	v_add_f64 v[8:9], v[48:49], v[52:53]
	v_fma_f64 v[32:33], v[4:5], s[10:11], v[34:35]
	v_add_f64 v[62:63], v[14:15], -v[18:19]
	v_add_f64 v[65:66], v[48:49], -v[12:13]
	v_fma_f64 v[58:59], v[60:61], s[6:7], v[56:57]
	v_add_f64 v[67:68], v[52:53], -v[16:17]
	v_add_f64 v[10:11], v[38:39], v[16:17]
	v_fma_f64 v[34:35], v[4:5], s[10:11], v[0:1]
	v_fma_f64 v[0:1], v[8:9], -0.5, v[44:45]
	v_add_f64 v[4:5], v[14:15], v[18:19]
	v_fma_f64 v[38:39], v[2:3], s[10:11], v[36:37]
	v_fma_f64 v[36:37], v[2:3], s[10:11], v[6:7]
	v_fma_f64 v[2:3], v[62:63], s[4:5], v[58:59]
	v_add_f64 v[6:7], v[65:66], v[67:68]
	v_add_f64 v[44:45], v[10:11], v[52:53]
	;; [unrolled: 1-line block ×3, first 2 shown]
	v_fma_f64 v[8:9], v[60:61], s[12:13], v[56:57]
	v_fma_f64 v[56:57], v[62:63], s[12:13], v[0:1]
	v_add_f64 v[58:59], v[12:13], -v[48:49]
	v_add_f64 v[65:66], v[16:17], -v[52:53]
	v_add_f64 v[67:68], v[46:47], v[50:51]
	v_fma_f64 v[4:5], v[4:5], -0.5, v[46:47]
	v_add_f64 v[48:49], v[48:49], -v[52:53]
	v_add_f64 v[12:13], v[12:13], -v[16:17]
	v_fma_f64 v[10:11], v[10:11], -0.5, v[46:47]
	v_fma_f64 v[8:9], v[62:63], s[14:15], v[8:9]
	v_fma_f64 v[16:17], v[60:61], s[4:5], v[56:57]
	v_add_f64 v[46:47], v[58:59], v[65:66]
	v_fma_f64 v[0:1], v[62:63], s[6:7], v[0:1]
	v_add_f64 v[52:53], v[67:68], v[14:15]
	v_fma_f64 v[56:57], v[48:49], s[12:13], v[4:5]
	v_add_f64 v[62:63], v[14:15], -v[50:51]
	v_fma_f64 v[58:59], v[12:13], s[6:7], v[10:11]
	v_add_f64 v[65:66], v[18:19], -v[54:55]
	v_add_f64 v[14:15], v[50:51], -v[14:15]
	v_add_f64 v[50:51], v[54:55], -v[18:19]
	v_fma_f64 v[4:5], v[48:49], s[6:7], v[4:5]
	v_fma_f64 v[10:11], v[12:13], s[12:13], v[10:11]
	;; [unrolled: 1-line block ×3, first 2 shown]
	v_add_f64 v[18:19], v[52:53], v[18:19]
	v_fma_f64 v[52:53], v[48:49], s[14:15], v[58:59]
	v_add_f64 v[58:59], v[62:63], v[65:66]
	v_fma_f64 v[2:3], v[6:7], s[10:11], v[2:3]
	;; [unrolled: 2-line block ×3, first 2 shown]
	v_fma_f64 v[10:11], v[48:49], s[4:5], v[10:11]
	v_fma_f64 v[56:57], v[12:13], s[14:15], v[56:57]
	;; [unrolled: 1-line block ×6, first 2 shown]
	s_mov_b32 s16, 0x9b97f4a8
	v_fma_f64 v[4:5], v[14:15], s[10:11], v[4:5]
	v_fma_f64 v[10:11], v[58:59], s[10:11], v[10:11]
	s_mov_b32 s17, 0x3fe9e377
	v_add_f64 v[46:47], v[18:19], v[54:55]
	v_fma_f64 v[16:17], v[14:15], s[10:11], v[56:57]
	v_mul_f64 v[14:15], v[2:3], s[16:17]
	v_mul_f64 v[18:19], v[12:13], s[6:7]
	;; [unrolled: 1-line block ×8, first 2 shown]
	v_fma_f64 v[54:55], v[16:17], s[4:5], v[14:15]
	v_fma_f64 v[52:53], v[8:9], s[10:11], v[18:19]
	v_fma_f64 v[48:49], v[10:11], s[6:7], -v[48:49]
	v_fma_f64 v[50:51], v[4:5], s[4:5], -v[50:51]
	v_fma_f64 v[62:63], v[16:17], s[16:17], v[2:3]
	v_fma_f64 v[58:59], v[12:13], s[10:11], v[56:57]
	v_fma_f64 v[56:57], v[0:1], s[12:13], -v[60:61]
	v_fma_f64 v[60:61], v[6:7], s[14:15], -v[65:66]
	v_add_f64 v[0:1], v[22:23], -v[44:45]
	v_add_f64 v[16:17], v[20:21], -v[54:55]
	;; [unrolled: 1-line block ×10, first 2 shown]
	s_barrier
	s_and_saveexec_b64 s[16:17], vcc
	s_cbranch_execz .LBB0_21
; %bb.20:
	v_add_f64 v[46:47], v[30:31], v[46:47]
	v_add_f64 v[44:45], v[22:23], v[44:45]
	;; [unrolled: 1-line block ×10, first 2 shown]
	s_movk_i32 s18, 0x90
	v_mad_u32_u24 v24, v40, s18, v64
	ds_write_b128 v24, v[44:47]
	ds_write_b128 v24, v[20:23] offset:16
	ds_write_b128 v24, v[28:31] offset:32
	;; [unrolled: 1-line block ×9, first 2 shown]
.LBB0_21:
	s_or_b64 exec, exec, s[16:17]
	s_movk_i32 s16, 0xcd
	v_mul_lo_u16_sdwa v20, v40, s16 dst_sel:DWORD dst_unused:UNUSED_PAD src0_sel:BYTE_0 src1_sel:DWORD
	v_lshrrev_b16_e32 v41, 11, v20
	v_mul_lo_u16_e32 v20, 10, v41
	v_sub_u16_e32 v69, v40, v20
	v_mov_b32_e32 v20, 6
	v_lshlrev_b32_sdwa v36, v20, v69 dst_sel:DWORD dst_unused:UNUSED_PAD src0_sel:DWORD src1_sel:BYTE_0
	s_waitcnt lgkmcnt(0)
	s_barrier
	global_load_dwordx4 v[20:23], v36, s[8:9]
	global_load_dwordx4 v[24:27], v36, s[8:9] offset:16
	global_load_dwordx4 v[28:31], v36, s[8:9] offset:32
	;; [unrolled: 1-line block ×3, first 2 shown]
	ds_read_b128 v[36:39], v64
	ds_read_b128 v[44:47], v64 offset:1600
	ds_read_b128 v[48:51], v64 offset:3200
	;; [unrolled: 1-line block ×4, first 2 shown]
	v_mov_b32_e32 v70, 4
	v_lshlrev_b32_sdwa v77, v70, v69 dst_sel:DWORD dst_unused:UNUSED_PAD src0_sel:DWORD src1_sel:BYTE_0
	v_mul_u32_u24_e32 v41, 0x320, v41
	v_add3_u32 v41, 0, v41, v77
	s_waitcnt vmcnt(0) lgkmcnt(0)
	s_barrier
	v_mul_f64 v[60:61], v[46:47], v[22:23]
	v_mul_f64 v[22:23], v[44:45], v[22:23]
	v_mul_f64 v[62:63], v[50:51], v[26:27]
	v_mul_f64 v[26:27], v[48:49], v[26:27]
	v_mul_f64 v[65:66], v[54:55], v[30:31]
	v_mul_f64 v[67:68], v[56:57], v[34:35]
	v_mul_f64 v[30:31], v[52:53], v[30:31]
	v_mul_f64 v[34:35], v[58:59], v[34:35]
	v_fma_f64 v[44:45], v[44:45], v[20:21], -v[60:61]
	v_fma_f64 v[20:21], v[46:47], v[20:21], v[22:23]
	v_fma_f64 v[22:23], v[48:49], v[24:25], -v[62:63]
	v_fma_f64 v[24:25], v[50:51], v[24:25], v[26:27]
	;; [unrolled: 2-line block ×3, first 2 shown]
	v_fma_f64 v[28:29], v[54:55], v[28:29], v[30:31]
	v_fma_f64 v[30:31], v[56:57], v[32:33], -v[34:35]
	v_add_f64 v[32:33], v[36:37], v[44:45]
	v_add_f64 v[62:63], v[38:39], v[20:21]
	v_add_f64 v[52:53], v[44:45], -v[22:23]
	v_add_f64 v[58:59], v[22:23], -v[44:45]
	v_add_f64 v[34:35], v[22:23], v[26:27]
	v_add_f64 v[73:74], v[20:21], v[46:47]
	;; [unrolled: 1-line block ×3, first 2 shown]
	v_add_f64 v[54:55], v[30:31], -v[26:27]
	v_add_f64 v[56:57], v[44:45], v[30:31]
	v_add_f64 v[48:49], v[20:21], -v[46:47]
	v_add_f64 v[50:51], v[24:25], -v[28:29]
	;; [unrolled: 1-line block ×8, first 2 shown]
	v_add_f64 v[22:23], v[32:33], v[22:23]
	v_fma_f64 v[32:33], v[34:35], -0.5, v[36:37]
	v_add_f64 v[34:35], v[52:53], v[54:55]
	v_fma_f64 v[36:37], v[56:57], -0.5, v[36:37]
	;; [unrolled: 2-line block ×3, first 2 shown]
	v_fma_f64 v[38:39], v[73:74], -0.5, v[38:39]
	v_add_f64 v[71:72], v[46:47], -v[28:29]
	v_add_f64 v[52:53], v[58:59], v[60:61]
	v_add_f64 v[58:59], v[20:21], v[75:76]
	;; [unrolled: 1-line block ×3, first 2 shown]
	v_fma_f64 v[22:23], v[48:49], s[6:7], v[32:33]
	v_fma_f64 v[26:27], v[48:49], s[12:13], v[32:33]
	;; [unrolled: 1-line block ×4, first 2 shown]
	v_add_f64 v[24:25], v[24:25], v[28:29]
	v_fma_f64 v[28:29], v[44:45], s[12:13], v[54:55]
	v_fma_f64 v[54:55], v[44:45], s[6:7], v[54:55]
	;; [unrolled: 1-line block ×4, first 2 shown]
	v_add_f64 v[56:57], v[69:70], v[71:72]
	v_add_f64 v[20:21], v[20:21], v[30:31]
	v_fma_f64 v[30:31], v[50:51], s[4:5], v[22:23]
	v_fma_f64 v[26:27], v[50:51], s[14:15], v[26:27]
	;; [unrolled: 1-line block ×4, first 2 shown]
	v_add_f64 v[22:23], v[24:25], v[46:47]
	v_fma_f64 v[46:47], v[67:68], s[14:15], v[28:29]
	v_fma_f64 v[50:51], v[44:45], s[14:15], v[60:61]
	;; [unrolled: 1-line block ×12, first 2 shown]
	ds_write_b128 v41, v[20:23]
	ds_write_b128 v41, v[24:27] offset:160
	ds_write_b128 v41, v[32:35] offset:320
	;; [unrolled: 1-line block ×4, first 2 shown]
	s_waitcnt lgkmcnt(0)
	s_barrier
	s_and_saveexec_b64 s[4:5], vcc
	s_cbranch_execz .LBB0_23
; %bb.22:
	ds_read_b128 v[20:23], v64
	ds_read_b128 v[24:27], v64 offset:800
	ds_read_b128 v[32:35], v64 offset:1600
	;; [unrolled: 1-line block ×9, first 2 shown]
.LBB0_23:
	s_or_b64 exec, exec, s[4:5]
	s_waitcnt lgkmcnt(0)
	s_barrier
	s_and_saveexec_b64 s[4:5], vcc
	s_cbranch_execz .LBB0_25
; %bb.24:
	v_subrev_u32_e32 v41, 50, v40
	v_cndmask_b32_e32 v41, v41, v40, vcc
	v_mul_i32_i24_e32 v44, 9, v41
	v_mov_b32_e32 v45, 0
	v_lshlrev_b64 v[44:45], 4, v[44:45]
	v_mov_b32_e32 v41, s9
	v_add_co_u32_e32 v73, vcc, s8, v44
	v_addc_co_u32_e32 v74, vcc, v41, v45, vcc
	global_load_dwordx4 v[44:47], v[73:74], off offset:688
	global_load_dwordx4 v[48:51], v[73:74], off offset:720
	;; [unrolled: 1-line block ×7, first 2 shown]
	s_mov_b32 s11, 0xbfee6f0e
	s_mov_b32 s10, s6
	;; [unrolled: 1-line block ×10, first 2 shown]
	s_waitcnt vmcnt(6)
	v_mul_f64 v[75:76], v[36:37], v[46:47]
	v_mul_f64 v[46:47], v[38:39], v[46:47]
	v_fma_f64 v[75:76], v[38:39], v[44:45], v[75:76]
	v_fma_f64 v[77:78], v[36:37], v[44:45], -v[46:47]
	global_load_dwordx4 v[36:39], v[73:74], off offset:736
	global_load_dwordx4 v[44:47], v[73:74], off offset:640
	s_waitcnt vmcnt(7)
	v_mul_f64 v[73:74], v[16:17], v[50:51]
	v_mul_f64 v[50:51], v[18:19], v[50:51]
	v_fma_f64 v[18:19], v[18:19], v[48:49], v[73:74]
	v_fma_f64 v[16:17], v[16:17], v[48:49], -v[50:51]
	s_waitcnt vmcnt(6)
	v_mul_f64 v[48:49], v[32:33], v[54:55]
	v_mul_f64 v[50:51], v[34:35], v[54:55]
	s_waitcnt vmcnt(4)
	v_mul_f64 v[54:55], v[12:13], v[62:63]
	v_mul_f64 v[62:63], v[14:15], v[62:63]
	v_fma_f64 v[34:35], v[34:35], v[52:53], v[48:49]
	v_fma_f64 v[32:33], v[32:33], v[52:53], -v[50:51]
	v_mul_f64 v[48:49], v[30:31], v[58:59]
	s_waitcnt vmcnt(3)
	v_mul_f64 v[50:51], v[2:3], v[67:68]
	s_waitcnt vmcnt(2)
	v_mul_f64 v[52:53], v[10:11], v[71:72]
	v_mul_f64 v[58:59], v[28:29], v[58:59]
	v_fma_f64 v[14:15], v[14:15], v[60:61], v[54:55]
	v_fma_f64 v[12:13], v[12:13], v[60:61], -v[62:63]
	v_mul_f64 v[62:63], v[8:9], v[71:72]
	v_mul_f64 v[67:68], v[0:1], v[67:68]
	v_fma_f64 v[28:29], v[28:29], v[56:57], -v[48:49]
	v_fma_f64 v[0:1], v[0:1], v[65:66], -v[50:51]
	;; [unrolled: 1-line block ×3, first 2 shown]
	v_fma_f64 v[30:31], v[30:31], v[56:57], v[58:59]
	v_add_f64 v[73:74], v[34:35], v[14:15]
	v_add_f64 v[48:49], v[75:76], v[18:19]
	v_fma_f64 v[10:11], v[10:11], v[69:70], v[62:63]
	v_fma_f64 v[2:3], v[2:3], v[65:66], v[67:68]
	v_add_f64 v[69:70], v[75:76], -v[34:35]
	v_add_f64 v[50:51], v[28:29], -v[0:1]
	;; [unrolled: 1-line block ×4, first 2 shown]
	v_fma_f64 v[73:74], v[73:74], -0.5, v[22:23]
	v_fma_f64 v[48:49], v[48:49], -0.5, v[22:23]
	v_add_f64 v[56:57], v[30:31], -v[10:11]
	v_add_f64 v[22:23], v[22:23], v[34:35]
	v_add_f64 v[69:70], v[69:70], v[71:72]
	;; [unrolled: 1-line block ×5, first 2 shown]
	s_waitcnt vmcnt(1)
	v_mul_f64 v[54:55], v[6:7], v[38:39]
	v_mul_f64 v[38:39], v[4:5], v[38:39]
	s_waitcnt vmcnt(0)
	v_mul_f64 v[60:61], v[26:27], v[46:47]
	v_mul_f64 v[46:47], v[24:25], v[46:47]
	v_fma_f64 v[4:5], v[4:5], v[36:37], -v[54:55]
	v_fma_f64 v[6:7], v[6:7], v[36:37], v[38:39]
	v_fma_f64 v[24:25], v[24:25], v[44:45], -v[60:61]
	v_fma_f64 v[26:27], v[26:27], v[44:45], v[46:47]
	v_add_f64 v[36:37], v[34:35], -v[75:76]
	v_add_f64 v[38:39], v[14:15], -v[18:19]
	;; [unrolled: 1-line block ×6, first 2 shown]
	v_add_f64 v[67:68], v[2:3], v[6:7]
	v_add_f64 v[46:47], v[32:33], -v[12:13]
	v_add_f64 v[54:55], v[0:1], v[4:5]
	v_add_f64 v[36:37], v[36:37], v[38:39]
	v_add_f64 v[38:39], v[4:5], -v[8:9]
	v_add_f64 v[58:59], v[2:3], -v[6:7]
	v_add_f64 v[50:51], v[50:51], v[52:53]
	v_add_f64 v[52:53], v[30:31], v[10:11]
	;; [unrolled: 1-line block ×4, first 2 shown]
	v_add_f64 v[65:66], v[0:1], -v[4:5]
	v_add_f64 v[30:31], v[2:3], -v[30:31]
	v_fma_f64 v[67:68], v[67:68], -0.5, v[26:27]
	v_add_f64 v[38:39], v[79:80], v[38:39]
	v_fma_f64 v[79:80], v[44:45], s[10:11], v[73:74]
	v_fma_f64 v[26:27], v[52:53], -0.5, v[26:27]
	v_add_f64 v[52:53], v[6:7], -v[10:11]
	v_add_f64 v[2:3], v[62:63], v[2:3]
	v_add_f64 v[62:63], v[28:29], -v[8:9]
	v_fma_f64 v[73:74], v[44:45], s[6:7], v[73:74]
	v_fma_f64 v[54:55], v[54:55], -0.5, v[24:25]
	v_fma_f64 v[71:72], v[71:72], -0.5, v[24:25]
	v_fma_f64 v[79:80], v[46:47], s[8:9], v[79:80]
	v_add_f64 v[34:35], v[34:35], -v[14:15]
	v_add_f64 v[30:31], v[30:31], v[52:53]
	v_fma_f64 v[52:53], v[65:66], s[10:11], v[26:27]
	v_fma_f64 v[26:27], v[65:66], s[6:7], v[26:27]
	v_add_f64 v[6:7], v[2:3], v[6:7]
	v_fma_f64 v[2:3], v[46:47], s[6:7], v[48:49]
	v_fma_f64 v[48:49], v[46:47], s[10:11], v[48:49]
	;; [unrolled: 1-line block ×14, first 2 shown]
	v_add_f64 v[73:74], v[22:23], v[14:15]
	v_fma_f64 v[62:63], v[56:57], s[12:13], v[62:63]
	v_fma_f64 v[56:57], v[56:57], s[8:9], v[71:72]
	;; [unrolled: 1-line block ×7, first 2 shown]
	v_add_f64 v[67:68], v[32:33], -v[77:78]
	v_fma_f64 v[62:63], v[38:39], s[14:15], v[62:63]
	v_fma_f64 v[38:39], v[38:39], s[14:15], v[56:57]
	;; [unrolled: 1-line block ×3, first 2 shown]
	v_add_f64 v[56:57], v[32:33], v[12:13]
	v_fma_f64 v[71:72], v[69:70], s[14:15], v[79:80]
	v_mul_f64 v[52:53], v[48:49], s[16:17]
	v_add_f64 v[69:70], v[77:78], v[16:17]
	v_fma_f64 v[54:55], v[58:59], s[8:9], v[54:55]
	v_add_f64 v[58:59], v[12:13], -v[16:17]
	v_fma_f64 v[79:80], v[36:37], s[14:15], v[2:3]
	v_fma_f64 v[26:27], v[30:31], s[14:15], v[26:27]
	v_mul_f64 v[2:3], v[22:23], s[14:15]
	v_add_f64 v[18:19], v[75:76], -v[18:19]
	v_fma_f64 v[30:31], v[14:15], s[12:13], -v[52:53]
	v_mul_f64 v[14:15], v[14:15], s[16:17]
	v_fma_f64 v[56:57], v[56:57], -0.5, v[20:21]
	v_fma_f64 v[52:53], v[69:70], -0.5, v[20:21]
	v_add_f64 v[20:21], v[20:21], v[32:33]
	v_add_f64 v[24:25], v[24:25], v[28:29]
	v_fma_f64 v[36:37], v[36:37], s[14:15], v[44:45]
	v_fma_f64 v[44:45], v[60:61], s[14:15], v[65:66]
	v_fma_f64 v[60:61], v[62:63], s[10:11], -v[2:3]
	v_add_f64 v[58:59], v[67:68], v[58:59]
	v_fma_f64 v[48:49], v[48:49], s[8:9], -v[14:15]
	v_add_f64 v[14:15], v[77:78], -v[32:33]
	v_add_f64 v[67:68], v[16:17], -v[12:13]
	v_fma_f64 v[32:33], v[18:19], s[6:7], v[56:57]
	v_mul_f64 v[62:63], v[62:63], s[14:15]
	v_fma_f64 v[50:51], v[50:51], s[14:15], v[54:55]
	v_add_f64 v[20:21], v[20:21], v[77:78]
	v_add_f64 v[0:1], v[24:25], v[0:1]
	;; [unrolled: 1-line block ×3, first 2 shown]
	v_fma_f64 v[10:11], v[34:35], s[10:11], v[52:53]
	v_add_f64 v[67:68], v[14:15], v[67:68]
	v_fma_f64 v[32:33], v[34:35], s[12:13], v[32:33]
	v_fma_f64 v[62:63], v[22:23], s[6:7], -v[62:63]
	v_fma_f64 v[22:23], v[18:19], s[10:11], v[56:57]
	v_fma_f64 v[52:53], v[34:35], s[6:7], v[52:53]
	v_mul_f64 v[54:55], v[38:39], s[10:11]
	v_mul_f64 v[65:66], v[50:51], s[12:13]
	v_add_f64 v[16:17], v[20:21], v[16:17]
	v_add_f64 v[20:21], v[0:1], v[4:5]
	v_fma_f64 v[24:25], v[67:68], s[14:15], v[32:33]
	v_add_f64 v[2:3], v[79:80], -v[30:31]
	v_fma_f64 v[22:23], v[34:35], s[8:9], v[22:23]
	v_fma_f64 v[32:33], v[18:19], s[8:9], v[52:53]
	v_mul_f64 v[34:35], v[44:45], s[8:9]
	v_fma_f64 v[28:29], v[26:27], s[14:15], v[54:55]
	v_fma_f64 v[54:55], v[44:45], s[16:17], v[65:66]
	;; [unrolled: 1-line block ×3, first 2 shown]
	v_mul_f64 v[26:27], v[26:27], s[6:7]
	v_add_f64 v[12:13], v[16:17], v[12:13]
	v_add_f64 v[8:9], v[20:21], v[8:9]
	v_fma_f64 v[52:53], v[58:59], s[14:15], v[32:33]
	v_fma_f64 v[50:51], v[50:51], s[16:17], v[34:35]
	v_fma_f64 v[44:45], v[67:68], s[14:15], v[22:23]
	v_add_f64 v[14:15], v[36:37], -v[54:55]
	v_fma_f64 v[56:57], v[58:59], s[14:15], v[65:66]
	v_fma_f64 v[58:59], v[38:39], s[14:15], v[26:27]
	v_add_f64 v[34:35], v[36:37], v[54:55]
	v_add_f64 v[38:39], v[73:74], v[69:70]
	;; [unrolled: 1-line block ×4, first 2 shown]
	v_add_f64 v[10:11], v[46:47], -v[28:29]
	v_add_f64 v[22:23], v[79:80], v[30:31]
	v_add_f64 v[30:31], v[46:47], v[28:29]
	;; [unrolled: 1-line block ×3, first 2 shown]
	v_add_f64 v[4:5], v[24:25], -v[62:63]
	v_add_f64 v[26:27], v[71:72], v[60:61]
	v_add_f64 v[24:25], v[24:25], v[62:63]
	;; [unrolled: 1-line block ×3, first 2 shown]
	v_add_f64 v[18:19], v[73:74], -v[69:70]
	v_add_f64 v[16:17], v[12:13], -v[8:9]
	;; [unrolled: 1-line block ×6, first 2 shown]
	ds_write_b128 v64, v[36:39]
	ds_write_b128 v64, v[32:35] offset:800
	ds_write_b128 v64, v[28:31] offset:1600
	;; [unrolled: 1-line block ×9, first 2 shown]
.LBB0_25:
	s_or_b64 exec, exec, s[4:5]
	s_waitcnt lgkmcnt(0)
	s_barrier
	s_and_saveexec_b64 s[4:5], s[0:1]
	s_cbranch_execz .LBB0_27
; %bb.26:
	v_lshl_add_u32 v10, v40, 4, 0
	v_mov_b32_e32 v41, 0
	ds_read_b128 v[0:3], v10
	v_mov_b32_e32 v4, s3
	v_add_co_u32_e32 v11, vcc, s2, v42
	v_addc_co_u32_e32 v12, vcc, v4, v43, vcc
	v_lshlrev_b64 v[4:5], 4, v[40:41]
	v_add_co_u32_e32 v8, vcc, v11, v4
	v_addc_co_u32_e32 v9, vcc, v12, v5, vcc
	ds_read_b128 v[4:7], v10 offset:1600
	s_waitcnt lgkmcnt(1)
	global_store_dwordx4 v[8:9], v[0:3], off
	s_nop 0
	v_add_u32_e32 v0, 0x64, v40
	v_mov_b32_e32 v1, v41
	v_lshlrev_b64 v[0:1], 4, v[0:1]
	v_add_co_u32_e32 v0, vcc, v11, v0
	v_addc_co_u32_e32 v1, vcc, v12, v1, vcc
	s_waitcnt lgkmcnt(0)
	global_store_dwordx4 v[0:1], v[4:7], off
	ds_read_b128 v[0:3], v10 offset:3200
	v_add_u32_e32 v4, 0xc8, v40
	v_mov_b32_e32 v5, v41
	v_lshlrev_b64 v[4:5], 4, v[4:5]
	v_add_co_u32_e32 v8, vcc, v11, v4
	v_addc_co_u32_e32 v9, vcc, v12, v5, vcc
	ds_read_b128 v[4:7], v10 offset:4800
	s_waitcnt lgkmcnt(1)
	global_store_dwordx4 v[8:9], v[0:3], off
	s_nop 0
	v_add_u32_e32 v0, 0x12c, v40
	v_mov_b32_e32 v1, v41
	v_lshlrev_b64 v[0:1], 4, v[0:1]
	v_add_u32_e32 v40, 0x190, v40
	v_add_co_u32_e32 v0, vcc, v11, v0
	v_addc_co_u32_e32 v1, vcc, v12, v1, vcc
	s_waitcnt lgkmcnt(0)
	global_store_dwordx4 v[0:1], v[4:7], off
	ds_read_b128 v[0:3], v10 offset:6400
	v_lshlrev_b64 v[4:5], 4, v[40:41]
	v_add_co_u32_e32 v4, vcc, v11, v4
	v_addc_co_u32_e32 v5, vcc, v12, v5, vcc
	s_waitcnt lgkmcnt(0)
	global_store_dwordx4 v[4:5], v[0:3], off
.LBB0_27:
	s_endpgm
	.section	.rodata,"a",@progbits
	.p2align	6, 0x0
	.amdhsa_kernel fft_rtc_fwd_len500_factors_10_5_10_wgs_100_tpt_100_halfLds_dp_ip_CI_unitstride_sbrr_C2R_dirReg
		.amdhsa_group_segment_fixed_size 0
		.amdhsa_private_segment_fixed_size 0
		.amdhsa_kernarg_size 88
		.amdhsa_user_sgpr_count 6
		.amdhsa_user_sgpr_private_segment_buffer 1
		.amdhsa_user_sgpr_dispatch_ptr 0
		.amdhsa_user_sgpr_queue_ptr 0
		.amdhsa_user_sgpr_kernarg_segment_ptr 1
		.amdhsa_user_sgpr_dispatch_id 0
		.amdhsa_user_sgpr_flat_scratch_init 0
		.amdhsa_user_sgpr_private_segment_size 0
		.amdhsa_uses_dynamic_stack 0
		.amdhsa_system_sgpr_private_segment_wavefront_offset 0
		.amdhsa_system_sgpr_workgroup_id_x 1
		.amdhsa_system_sgpr_workgroup_id_y 0
		.amdhsa_system_sgpr_workgroup_id_z 0
		.amdhsa_system_sgpr_workgroup_info 0
		.amdhsa_system_vgpr_workitem_id 0
		.amdhsa_next_free_vgpr 83
		.amdhsa_next_free_sgpr 22
		.amdhsa_reserve_vcc 1
		.amdhsa_reserve_flat_scratch 0
		.amdhsa_float_round_mode_32 0
		.amdhsa_float_round_mode_16_64 0
		.amdhsa_float_denorm_mode_32 3
		.amdhsa_float_denorm_mode_16_64 3
		.amdhsa_dx10_clamp 1
		.amdhsa_ieee_mode 1
		.amdhsa_fp16_overflow 0
		.amdhsa_exception_fp_ieee_invalid_op 0
		.amdhsa_exception_fp_denorm_src 0
		.amdhsa_exception_fp_ieee_div_zero 0
		.amdhsa_exception_fp_ieee_overflow 0
		.amdhsa_exception_fp_ieee_underflow 0
		.amdhsa_exception_fp_ieee_inexact 0
		.amdhsa_exception_int_div_zero 0
	.end_amdhsa_kernel
	.text
.Lfunc_end0:
	.size	fft_rtc_fwd_len500_factors_10_5_10_wgs_100_tpt_100_halfLds_dp_ip_CI_unitstride_sbrr_C2R_dirReg, .Lfunc_end0-fft_rtc_fwd_len500_factors_10_5_10_wgs_100_tpt_100_halfLds_dp_ip_CI_unitstride_sbrr_C2R_dirReg
                                        ; -- End function
	.section	.AMDGPU.csdata,"",@progbits
; Kernel info:
; codeLenInByte = 6408
; NumSgprs: 26
; NumVgprs: 83
; ScratchSize: 0
; MemoryBound: 0
; FloatMode: 240
; IeeeMode: 1
; LDSByteSize: 0 bytes/workgroup (compile time only)
; SGPRBlocks: 3
; VGPRBlocks: 20
; NumSGPRsForWavesPerEU: 26
; NumVGPRsForWavesPerEU: 83
; Occupancy: 3
; WaveLimiterHint : 1
; COMPUTE_PGM_RSRC2:SCRATCH_EN: 0
; COMPUTE_PGM_RSRC2:USER_SGPR: 6
; COMPUTE_PGM_RSRC2:TRAP_HANDLER: 0
; COMPUTE_PGM_RSRC2:TGID_X_EN: 1
; COMPUTE_PGM_RSRC2:TGID_Y_EN: 0
; COMPUTE_PGM_RSRC2:TGID_Z_EN: 0
; COMPUTE_PGM_RSRC2:TIDIG_COMP_CNT: 0
	.type	__hip_cuid_7d7b257c1e7e0dd5,@object ; @__hip_cuid_7d7b257c1e7e0dd5
	.section	.bss,"aw",@nobits
	.globl	__hip_cuid_7d7b257c1e7e0dd5
__hip_cuid_7d7b257c1e7e0dd5:
	.byte	0                               ; 0x0
	.size	__hip_cuid_7d7b257c1e7e0dd5, 1

	.ident	"AMD clang version 19.0.0git (https://github.com/RadeonOpenCompute/llvm-project roc-6.4.0 25133 c7fe45cf4b819c5991fe208aaa96edf142730f1d)"
	.section	".note.GNU-stack","",@progbits
	.addrsig
	.addrsig_sym __hip_cuid_7d7b257c1e7e0dd5
	.amdgpu_metadata
---
amdhsa.kernels:
  - .args:
      - .actual_access:  read_only
        .address_space:  global
        .offset:         0
        .size:           8
        .value_kind:     global_buffer
      - .offset:         8
        .size:           8
        .value_kind:     by_value
      - .actual_access:  read_only
        .address_space:  global
        .offset:         16
        .size:           8
        .value_kind:     global_buffer
      - .actual_access:  read_only
        .address_space:  global
        .offset:         24
        .size:           8
        .value_kind:     global_buffer
      - .offset:         32
        .size:           8
        .value_kind:     by_value
      - .actual_access:  read_only
        .address_space:  global
        .offset:         40
        .size:           8
        .value_kind:     global_buffer
      - .actual_access:  read_only
        .address_space:  global
        .offset:         48
        .size:           8
        .value_kind:     global_buffer
      - .offset:         56
        .size:           4
        .value_kind:     by_value
      - .actual_access:  read_only
        .address_space:  global
        .offset:         64
        .size:           8
        .value_kind:     global_buffer
      - .actual_access:  read_only
        .address_space:  global
        .offset:         72
        .size:           8
        .value_kind:     global_buffer
      - .address_space:  global
        .offset:         80
        .size:           8
        .value_kind:     global_buffer
    .group_segment_fixed_size: 0
    .kernarg_segment_align: 8
    .kernarg_segment_size: 88
    .language:       OpenCL C
    .language_version:
      - 2
      - 0
    .max_flat_workgroup_size: 100
    .name:           fft_rtc_fwd_len500_factors_10_5_10_wgs_100_tpt_100_halfLds_dp_ip_CI_unitstride_sbrr_C2R_dirReg
    .private_segment_fixed_size: 0
    .sgpr_count:     26
    .sgpr_spill_count: 0
    .symbol:         fft_rtc_fwd_len500_factors_10_5_10_wgs_100_tpt_100_halfLds_dp_ip_CI_unitstride_sbrr_C2R_dirReg.kd
    .uniform_work_group_size: 1
    .uses_dynamic_stack: false
    .vgpr_count:     83
    .vgpr_spill_count: 0
    .wavefront_size: 64
amdhsa.target:   amdgcn-amd-amdhsa--gfx906
amdhsa.version:
  - 1
  - 2
...

	.end_amdgpu_metadata
